;; amdgpu-corpus repo=ROCm/rocFFT kind=compiled arch=gfx1030 opt=O3
	.text
	.amdgcn_target "amdgcn-amd-amdhsa--gfx1030"
	.amdhsa_code_object_version 6
	.protected	fft_rtc_fwd_len1872_factors_13_3_4_6_2_wgs_156_tpt_156_halfLds_sp_op_CI_CI_sbrr_dirReg ; -- Begin function fft_rtc_fwd_len1872_factors_13_3_4_6_2_wgs_156_tpt_156_halfLds_sp_op_CI_CI_sbrr_dirReg
	.globl	fft_rtc_fwd_len1872_factors_13_3_4_6_2_wgs_156_tpt_156_halfLds_sp_op_CI_CI_sbrr_dirReg
	.p2align	8
	.type	fft_rtc_fwd_len1872_factors_13_3_4_6_2_wgs_156_tpt_156_halfLds_sp_op_CI_CI_sbrr_dirReg,@function
fft_rtc_fwd_len1872_factors_13_3_4_6_2_wgs_156_tpt_156_halfLds_sp_op_CI_CI_sbrr_dirReg: ; @fft_rtc_fwd_len1872_factors_13_3_4_6_2_wgs_156_tpt_156_halfLds_sp_op_CI_CI_sbrr_dirReg
; %bb.0:
	s_clause 0x2
	s_load_dwordx4 s[16:19], s[4:5], 0x18
	s_load_dwordx4 s[12:15], s[4:5], 0x0
	;; [unrolled: 1-line block ×3, first 2 shown]
	v_mul_u32_u24_e32 v1, 0x1a5, v0
	v_mov_b32_e32 v3, 0
	v_mov_b32_e32 v9, 0
	;; [unrolled: 1-line block ×3, first 2 shown]
	s_waitcnt lgkmcnt(0)
	s_load_dwordx2 s[20:21], s[16:17], 0x0
	s_load_dwordx2 s[2:3], s[18:19], 0x0
	v_cmp_lt_u64_e64 s0, s[14:15], 2
	v_add_nc_u32_sdwa v7, s6, v1 dst_sel:DWORD dst_unused:UNUSED_PAD src0_sel:DWORD src1_sel:WORD_1
	v_mov_b32_e32 v8, v3
	s_and_b32 vcc_lo, exec_lo, s0
	s_cbranch_vccnz .LBB0_8
; %bb.1:
	s_load_dwordx2 s[0:1], s[4:5], 0x10
	v_mov_b32_e32 v9, 0
	v_mov_b32_e32 v10, 0
	s_add_u32 s6, s18, 8
	s_addc_u32 s7, s19, 0
	v_mov_b32_e32 v1, v9
	s_add_u32 s22, s16, 8
	v_mov_b32_e32 v2, v10
	s_addc_u32 s23, s17, 0
	s_mov_b64 s[26:27], 1
	s_waitcnt lgkmcnt(0)
	s_add_u32 s24, s0, 8
	s_addc_u32 s25, s1, 0
.LBB0_2:                                ; =>This Inner Loop Header: Depth=1
	s_load_dwordx2 s[28:29], s[24:25], 0x0
                                        ; implicit-def: $vgpr5_vgpr6
	s_mov_b32 s0, exec_lo
	s_waitcnt lgkmcnt(0)
	v_or_b32_e32 v4, s29, v8
	v_cmpx_ne_u64_e32 0, v[3:4]
	s_xor_b32 s1, exec_lo, s0
	s_cbranch_execz .LBB0_4
; %bb.3:                                ;   in Loop: Header=BB0_2 Depth=1
	v_cvt_f32_u32_e32 v4, s28
	v_cvt_f32_u32_e32 v5, s29
	s_sub_u32 s0, 0, s28
	s_subb_u32 s30, 0, s29
	v_fmac_f32_e32 v4, 0x4f800000, v5
	v_rcp_f32_e32 v4, v4
	v_mul_f32_e32 v4, 0x5f7ffffc, v4
	v_mul_f32_e32 v5, 0x2f800000, v4
	v_trunc_f32_e32 v5, v5
	v_fmac_f32_e32 v4, 0xcf800000, v5
	v_cvt_u32_f32_e32 v5, v5
	v_cvt_u32_f32_e32 v4, v4
	v_mul_lo_u32 v6, s0, v5
	v_mul_hi_u32 v11, s0, v4
	v_mul_lo_u32 v12, s30, v4
	v_add_nc_u32_e32 v6, v11, v6
	v_mul_lo_u32 v11, s0, v4
	v_add_nc_u32_e32 v6, v6, v12
	v_mul_hi_u32 v12, v4, v11
	v_mul_lo_u32 v13, v4, v6
	v_mul_hi_u32 v14, v4, v6
	v_mul_hi_u32 v15, v5, v11
	v_mul_lo_u32 v11, v5, v11
	v_mul_hi_u32 v16, v5, v6
	v_mul_lo_u32 v6, v5, v6
	v_add_co_u32 v12, vcc_lo, v12, v13
	v_add_co_ci_u32_e32 v13, vcc_lo, 0, v14, vcc_lo
	v_add_co_u32 v11, vcc_lo, v12, v11
	v_add_co_ci_u32_e32 v11, vcc_lo, v13, v15, vcc_lo
	v_add_co_ci_u32_e32 v12, vcc_lo, 0, v16, vcc_lo
	v_add_co_u32 v6, vcc_lo, v11, v6
	v_add_co_ci_u32_e32 v11, vcc_lo, 0, v12, vcc_lo
	v_add_co_u32 v4, vcc_lo, v4, v6
	v_add_co_ci_u32_e32 v5, vcc_lo, v5, v11, vcc_lo
	v_mul_hi_u32 v6, s0, v4
	v_mul_lo_u32 v12, s30, v4
	v_mul_lo_u32 v11, s0, v5
	v_add_nc_u32_e32 v6, v6, v11
	v_mul_lo_u32 v11, s0, v4
	v_add_nc_u32_e32 v6, v6, v12
	v_mul_hi_u32 v12, v4, v11
	v_mul_lo_u32 v13, v4, v6
	v_mul_hi_u32 v14, v4, v6
	v_mul_hi_u32 v15, v5, v11
	v_mul_lo_u32 v11, v5, v11
	v_mul_hi_u32 v16, v5, v6
	v_mul_lo_u32 v6, v5, v6
	v_add_co_u32 v12, vcc_lo, v12, v13
	v_add_co_ci_u32_e32 v13, vcc_lo, 0, v14, vcc_lo
	v_add_co_u32 v11, vcc_lo, v12, v11
	v_add_co_ci_u32_e32 v11, vcc_lo, v13, v15, vcc_lo
	v_add_co_ci_u32_e32 v12, vcc_lo, 0, v16, vcc_lo
	v_add_co_u32 v6, vcc_lo, v11, v6
	v_add_co_ci_u32_e32 v11, vcc_lo, 0, v12, vcc_lo
	v_add_co_u32 v6, vcc_lo, v4, v6
	v_add_co_ci_u32_e32 v13, vcc_lo, v5, v11, vcc_lo
	v_mul_hi_u32 v15, v7, v6
	v_mad_u64_u32 v[11:12], null, v8, v6, 0
	v_mad_u64_u32 v[4:5], null, v7, v13, 0
	v_mad_u64_u32 v[13:14], null, v8, v13, 0
	v_add_co_u32 v4, vcc_lo, v15, v4
	v_add_co_ci_u32_e32 v5, vcc_lo, 0, v5, vcc_lo
	v_add_co_u32 v4, vcc_lo, v4, v11
	v_add_co_ci_u32_e32 v4, vcc_lo, v5, v12, vcc_lo
	v_add_co_ci_u32_e32 v5, vcc_lo, 0, v14, vcc_lo
	v_add_co_u32 v11, vcc_lo, v4, v13
	v_add_co_ci_u32_e32 v6, vcc_lo, 0, v5, vcc_lo
	v_mul_lo_u32 v12, s29, v11
	v_mad_u64_u32 v[4:5], null, s28, v11, 0
	v_mul_lo_u32 v13, s28, v6
	v_sub_co_u32 v4, vcc_lo, v7, v4
	v_add3_u32 v5, v5, v13, v12
	v_sub_nc_u32_e32 v12, v8, v5
	v_subrev_co_ci_u32_e64 v12, s0, s29, v12, vcc_lo
	v_add_co_u32 v13, s0, v11, 2
	v_add_co_ci_u32_e64 v14, s0, 0, v6, s0
	v_sub_co_u32 v15, s0, v4, s28
	v_sub_co_ci_u32_e32 v5, vcc_lo, v8, v5, vcc_lo
	v_subrev_co_ci_u32_e64 v12, s0, 0, v12, s0
	v_cmp_le_u32_e32 vcc_lo, s28, v15
	v_cmp_eq_u32_e64 s0, s29, v5
	v_cndmask_b32_e64 v15, 0, -1, vcc_lo
	v_cmp_le_u32_e32 vcc_lo, s29, v12
	v_cndmask_b32_e64 v16, 0, -1, vcc_lo
	v_cmp_le_u32_e32 vcc_lo, s28, v4
	;; [unrolled: 2-line block ×3, first 2 shown]
	v_cndmask_b32_e64 v17, 0, -1, vcc_lo
	v_cmp_eq_u32_e32 vcc_lo, s29, v12
	v_cndmask_b32_e64 v4, v17, v4, s0
	v_cndmask_b32_e32 v12, v16, v15, vcc_lo
	v_add_co_u32 v15, vcc_lo, v11, 1
	v_add_co_ci_u32_e32 v16, vcc_lo, 0, v6, vcc_lo
	v_cmp_ne_u32_e32 vcc_lo, 0, v12
	v_cndmask_b32_e32 v5, v16, v14, vcc_lo
	v_cndmask_b32_e32 v12, v15, v13, vcc_lo
	v_cmp_ne_u32_e32 vcc_lo, 0, v4
	v_cndmask_b32_e32 v6, v6, v5, vcc_lo
	v_cndmask_b32_e32 v5, v11, v12, vcc_lo
.LBB0_4:                                ;   in Loop: Header=BB0_2 Depth=1
	s_andn2_saveexec_b32 s0, s1
	s_cbranch_execz .LBB0_6
; %bb.5:                                ;   in Loop: Header=BB0_2 Depth=1
	v_cvt_f32_u32_e32 v4, s28
	s_sub_i32 s1, 0, s28
	v_rcp_iflag_f32_e32 v4, v4
	v_mul_f32_e32 v4, 0x4f7ffffe, v4
	v_cvt_u32_f32_e32 v4, v4
	v_mul_lo_u32 v5, s1, v4
	v_mul_hi_u32 v5, v4, v5
	v_add_nc_u32_e32 v4, v4, v5
	v_mul_hi_u32 v4, v7, v4
	v_mul_lo_u32 v5, v4, s28
	v_add_nc_u32_e32 v6, 1, v4
	v_sub_nc_u32_e32 v5, v7, v5
	v_subrev_nc_u32_e32 v11, s28, v5
	v_cmp_le_u32_e32 vcc_lo, s28, v5
	v_cndmask_b32_e32 v5, v5, v11, vcc_lo
	v_cndmask_b32_e32 v4, v4, v6, vcc_lo
	v_cmp_le_u32_e32 vcc_lo, s28, v5
	v_add_nc_u32_e32 v6, 1, v4
	v_cndmask_b32_e32 v5, v4, v6, vcc_lo
	v_mov_b32_e32 v6, v3
.LBB0_6:                                ;   in Loop: Header=BB0_2 Depth=1
	s_or_b32 exec_lo, exec_lo, s0
	v_mul_lo_u32 v4, v6, s28
	v_mul_lo_u32 v13, v5, s29
	s_load_dwordx2 s[0:1], s[22:23], 0x0
	v_mad_u64_u32 v[11:12], null, v5, s28, 0
	s_load_dwordx2 s[28:29], s[6:7], 0x0
	s_add_u32 s26, s26, 1
	s_addc_u32 s27, s27, 0
	s_add_u32 s6, s6, 8
	s_addc_u32 s7, s7, 0
	s_add_u32 s22, s22, 8
	v_add3_u32 v4, v12, v13, v4
	v_sub_co_u32 v7, vcc_lo, v7, v11
	s_addc_u32 s23, s23, 0
	s_add_u32 s24, s24, 8
	v_sub_co_ci_u32_e32 v4, vcc_lo, v8, v4, vcc_lo
	s_addc_u32 s25, s25, 0
	s_waitcnt lgkmcnt(0)
	v_mul_lo_u32 v8, s0, v4
	v_mul_lo_u32 v11, s1, v7
	v_mad_u64_u32 v[9:10], null, s0, v7, v[9:10]
	v_mul_lo_u32 v4, s28, v4
	v_mul_lo_u32 v12, s29, v7
	v_mad_u64_u32 v[1:2], null, s28, v7, v[1:2]
	v_cmp_ge_u64_e64 s0, s[26:27], s[14:15]
	v_add3_u32 v10, v11, v10, v8
	v_add3_u32 v2, v12, v2, v4
	s_and_b32 vcc_lo, exec_lo, s0
	s_cbranch_vccnz .LBB0_9
; %bb.7:                                ;   in Loop: Header=BB0_2 Depth=1
	v_mov_b32_e32 v8, v6
	v_mov_b32_e32 v7, v5
	s_branch .LBB0_2
.LBB0_8:
	v_mov_b32_e32 v1, v9
	v_mov_b32_e32 v5, v7
	;; [unrolled: 1-line block ×4, first 2 shown]
.LBB0_9:
	s_load_dwordx2 s[0:1], s[4:5], 0x28
	v_mul_hi_u32 v3, 0x1a41a42, v0
	s_lshl_b64 s[6:7], s[14:15], 3
	v_mov_b32_e32 v21, 0
	v_mov_b32_e32 v20, 0
	s_add_u32 s4, s18, s6
	s_addc_u32 s5, s19, s7
                                        ; implicit-def: $vgpr35
                                        ; implicit-def: $vgpr33
                                        ; implicit-def: $vgpr19
                                        ; implicit-def: $vgpr29
                                        ; implicit-def: $vgpr17
                                        ; implicit-def: $vgpr8
                                        ; implicit-def: $vgpr25
                                        ; implicit-def: $vgpr31
                                        ; implicit-def: $vgpr41
                                        ; implicit-def: $vgpr43
                                        ; implicit-def: $vgpr45
                                        ; implicit-def: $vgpr13
	v_mul_u32_u24_e32 v3, 0x9c, v3
	v_sub_nc_u32_e32 v3, v0, v3
	s_waitcnt lgkmcnt(0)
	v_cmp_gt_u64_e32 vcc_lo, s[0:1], v[5:6]
	v_cmp_gt_u32_e64 s0, 0x90, v3
	s_and_b32 s1, vcc_lo, s0
	s_and_saveexec_b32 s14, s1
	s_cbranch_execz .LBB0_11
; %bb.10:
	s_add_u32 s6, s16, s6
	s_addc_u32 s7, s17, s7
	v_mad_u64_u32 v[7:8], null, s20, v3, 0
	s_load_dwordx2 s[6:7], s[6:7], 0x0
	v_add_nc_u32_e32 v21, 0x90, v3
	v_add_nc_u32_e32 v24, 0x120, v3
	;; [unrolled: 1-line block ×4, first 2 shown]
	v_lshlrev_b64 v[9:10], 3, v[9:10]
	v_mov_b32_e32 v0, v8
	v_mad_u64_u32 v[11:12], null, s20, v21, 0
	v_mad_u64_u32 v[13:14], null, s20, v24, 0
	;; [unrolled: 1-line block ×4, first 2 shown]
	v_mov_b32_e32 v0, v12
	v_mad_u64_u32 v[22:23], null, s20, v27, 0
	v_mov_b32_e32 v4, v14
	v_mov_b32_e32 v12, v16
	s_waitcnt lgkmcnt(0)
	v_mul_lo_u32 v8, s7, v5
	v_mul_lo_u32 v25, s6, v6
	v_mad_u64_u32 v[17:18], null, s6, v5, 0
	v_mad_u64_u32 v[20:21], null, s21, v21, v[0:1]
	v_add_nc_u32_e32 v41, 0x630, v3
	v_add3_u32 v18, v18, v25, v8
	v_mov_b32_e32 v8, v19
	v_mad_u64_u32 v[24:25], null, s21, v24, v[4:5]
	v_mad_u64_u32 v[36:37], null, s20, v41, 0
	v_lshlrev_b64 v[16:17], 3, v[17:18]
	v_mad_u64_u32 v[18:19], null, s21, v26, v[12:13]
	v_mov_b32_e32 v12, v20
	v_mov_b32_e32 v14, v24
	v_lshlrev_b64 v[7:8], 3, v[7:8]
	v_add_co_u32 v0, s1, s8, v16
	v_add_co_ci_u32_e64 v4, s1, s9, v17, s1
	v_mov_b32_e32 v16, v18
	v_add_co_u32 v40, s1, v0, v9
	v_mov_b32_e32 v0, v23
	v_add_nc_u32_e32 v18, 0x2d0, v3
	v_add_co_ci_u32_e64 v4, s1, v4, v10, s1
	v_lshlrev_b64 v[9:10], 3, v[11:12]
	v_lshlrev_b64 v[11:12], 3, v[13:14]
	;; [unrolled: 1-line block ×3, first 2 shown]
	v_mad_u64_u32 v[15:16], null, s21, v27, v[0:1]
	v_mad_u64_u32 v[16:17], null, s20, v18, 0
	v_add_nc_u32_e32 v26, 0x360, v3
	v_add_co_u32 v7, s1, v40, v7
	v_add_co_ci_u32_e64 v8, s1, v4, v8, s1
	v_add_co_u32 v9, s1, v40, v9
	v_mad_u64_u32 v[24:25], null, s20, v26, 0
	v_add_co_ci_u32_e64 v10, s1, v4, v10, s1
	v_add_co_u32 v11, s1, v40, v11
	v_mov_b32_e32 v0, v17
	v_add_co_ci_u32_e64 v12, s1, v4, v12, s1
	v_mov_b32_e32 v23, v15
	v_add_nc_u32_e32 v15, 0x3f0, v3
	v_add_co_u32 v13, s1, v40, v13
	v_add_co_ci_u32_e64 v14, s1, v4, v14, s1
	v_mad_u64_u32 v[17:18], null, s21, v18, v[0:1]
	v_mov_b32_e32 v0, v25
	s_clause 0x3
	global_load_dwordx2 v[20:21], v[7:8], off
	global_load_dwordx2 v[34:35], v[9:10], off
	;; [unrolled: 1-line block ×4, first 2 shown]
	v_mad_u64_u32 v[9:10], null, s20, v15, 0
	v_lshlrev_b64 v[7:8], 3, v[22:23]
	v_mad_u64_u32 v[11:12], null, s21, v26, v[0:1]
	v_lshlrev_b64 v[12:13], 3, v[16:17]
	v_add_nc_u32_e32 v26, 0x480, v3
	v_mov_b32_e32 v0, v10
	v_add_co_u32 v7, s1, v40, v7
	v_mov_b32_e32 v25, v11
	v_add_co_ci_u32_e64 v8, s1, v4, v8, s1
	v_mad_u64_u32 v[10:11], null, s21, v15, v[0:1]
	v_add_co_u32 v11, s1, v40, v12
	v_mad_u64_u32 v[14:15], null, s20, v26, 0
	v_add_co_ci_u32_e64 v12, s1, v4, v13, s1
	v_add_nc_u32_e32 v13, 0x510, v3
	v_lshlrev_b64 v[16:17], 3, v[24:25]
	v_lshlrev_b64 v[9:10], 3, v[9:10]
	v_mov_b32_e32 v0, v15
	v_mad_u64_u32 v[22:23], null, s20, v13, 0
	v_add_co_u32 v24, s1, v40, v16
	v_add_co_ci_u32_e64 v25, s1, v4, v17, s1
	v_add_nc_u32_e32 v17, 0x5a0, v3
	v_mad_u64_u32 v[15:16], null, s21, v26, v[0:1]
	v_mov_b32_e32 v0, v23
	v_add_co_u32 v9, s1, v40, v9
	v_mad_u64_u32 v[26:27], null, s20, v17, 0
	v_mad_u64_u32 v[30:31], null, s21, v13, v[0:1]
	v_add_nc_u32_e32 v31, 0x6c0, v3
	v_add_co_ci_u32_e64 v10, s1, v4, v10, s1
	v_mov_b32_e32 v0, v27
	v_mad_u64_u32 v[38:39], null, s20, v31, 0
	v_mov_b32_e32 v23, v30
	v_mad_u64_u32 v[27:28], null, s21, v17, v[0:1]
	v_mov_b32_e32 v0, v37
	s_clause 0x3
	global_load_dwordx2 v[28:29], v[7:8], off
	global_load_dwordx2 v[16:17], v[11:12], off
	;; [unrolled: 1-line block ×4, first 2 shown]
	v_lshlrev_b64 v[9:10], 3, v[14:15]
	v_lshlrev_b64 v[22:23], 3, v[22:23]
	v_mad_u64_u32 v[14:15], null, s21, v41, v[0:1]
	v_mov_b32_e32 v0, v39
	v_add_co_u32 v9, s1, v40, v9
	v_add_co_ci_u32_e64 v10, s1, v4, v10, s1
	v_mad_u64_u32 v[24:25], null, s21, v31, v[0:1]
	v_mov_b32_e32 v37, v14
	v_lshlrev_b64 v[25:26], 3, v[26:27]
	v_add_co_u32 v14, s1, v40, v22
	v_add_co_ci_u32_e64 v15, s1, v4, v23, s1
	v_mov_b32_e32 v39, v24
	v_lshlrev_b64 v[22:23], 3, v[36:37]
	v_add_co_u32 v36, s1, v40, v25
	v_add_co_ci_u32_e64 v37, s1, v4, v26, s1
	v_lshlrev_b64 v[24:25], 3, v[38:39]
	v_add_co_u32 v22, s1, v40, v22
	v_add_co_ci_u32_e64 v23, s1, v4, v23, s1
	v_add_co_u32 v26, s1, v40, v24
	v_add_co_ci_u32_e64 v27, s1, v4, v25, s1
	s_clause 0x4
	global_load_dwordx2 v[24:25], v[9:10], off
	global_load_dwordx2 v[30:31], v[14:15], off
	;; [unrolled: 1-line block ×5, first 2 shown]
.LBB0_11:
	s_or_b32 exec_lo, exec_lo, s14
	s_and_saveexec_b32 s1, s0
	s_cbranch_execz .LBB0_13
; %bb.12:
	s_waitcnt vmcnt(0)
	v_sub_f32_e32 v0, v35, v43
	v_add_f32_e32 v4, v34, v42
	v_sub_f32_e32 v10, v33, v45
	v_add_f32_e32 v9, v32, v44
	v_sub_f32_e32 v15, v19, v41
	v_mul_f32_e32 v14, 0xbe750f2a, v0
	v_add_f32_e32 v11, v18, v40
	v_mul_f32_e32 v26, 0x3eedf032, v10
	v_sub_f32_e32 v23, v29, v31
	v_mul_f32_e32 v38, 0xbf29c268, v15
	v_fmamk_f32 v27, v4, 0xbf788fa5, v14
	v_add_f32_e32 v22, v28, v30
	v_fmamk_f32 v39, v9, 0x3f62ad3f, v26
	v_sub_f32_e32 v37, v17, v25
	v_mul_f32_e32 v48, 0x3f52af12, v23
	v_add_f32_e32 v27, v20, v27
	v_fmamk_f32 v49, v11, 0xbf3f9e67, v38
	v_fma_f32 v14, 0xbf788fa5, v4, -v14
	v_add_f32_e32 v36, v16, v24
	v_fmamk_f32 v50, v22, 0x3f116cb1, v48
	v_add_f32_e32 v27, v27, v39
	v_mul_f32_e32 v39, 0xbf6f5d39, v37
	v_fma_f32 v26, 0x3f62ad3f, v9, -v26
	v_add_f32_e32 v14, v20, v14
	v_fma_f32 v38, 0xbf3f9e67, v11, -v38
	v_add_f32_e32 v27, v49, v27
	v_mul_f32_e32 v49, 0xbf29c268, v0
	v_fmamk_f32 v51, v36, 0xbeb58ec6, v39
	v_add_f32_e32 v14, v14, v26
	v_mul_f32_e32 v52, 0x3f7e222b, v10
	v_add_f32_e32 v27, v50, v27
	v_fmamk_f32 v50, v4, 0xbf3f9e67, v49
	v_sub_f32_e32 v47, v8, v13
	v_add_f32_e32 v14, v38, v14
	v_fma_f32 v38, 0x3f116cb1, v22, -v48
	v_add_f32_e32 v27, v51, v27
	v_add_f32_e32 v48, v20, v50
	v_fmamk_f32 v50, v9, 0x3df6dbef, v52
	v_mul_f32_e32 v51, 0xbf52af12, v15
	v_add_f32_e32 v46, v7, v12
	v_mul_f32_e32 v26, 0x3f7e222b, v47
	v_add_f32_e32 v14, v38, v14
	v_fma_f32 v38, 0xbeb58ec6, v36, -v39
	v_add_f32_e32 v39, v48, v50
	v_fmamk_f32 v48, v11, 0x3f116cb1, v51
	v_mul_f32_e32 v50, 0x3e750f2a, v23
	v_fmamk_f32 v53, v46, 0x3df6dbef, v26
	v_add_f32_e32 v14, v38, v14
	v_fma_f32 v38, 0xbf3f9e67, v4, -v49
	v_add_f32_e32 v39, v48, v39
	v_fmamk_f32 v48, v22, 0xbf788fa5, v50
	v_mul_f32_e32 v49, 0x3eedf032, v37
	v_fma_f32 v26, 0x3df6dbef, v46, -v26
	v_add_f32_e32 v38, v20, v38
	v_fma_f32 v52, 0x3df6dbef, v9, -v52
	v_add_f32_e32 v39, v48, v39
	v_fmamk_f32 v48, v36, 0x3f62ad3f, v49
	v_add_f32_e32 v14, v26, v14
	v_mul_f32_e32 v26, 0xbf6f5d39, v0
	v_add_f32_e32 v27, v53, v27
	v_add_f32_e32 v38, v38, v52
	v_fma_f32 v51, 0x3f116cb1, v11, -v51
	v_add_f32_e32 v39, v48, v39
	v_mul_f32_e32 v48, 0xbf6f5d39, v47
	v_fmamk_f32 v52, v4, 0xbeb58ec6, v26
	v_mul_f32_e32 v53, 0x3f29c268, v10
	v_add_f32_e32 v38, v51, v38
	v_fma_f32 v50, 0xbf788fa5, v22, -v50
	v_fmamk_f32 v51, v46, 0xbeb58ec6, v48
	v_add_f32_e32 v52, v20, v52
	v_fmamk_f32 v54, v9, 0xbf3f9e67, v53
	v_mul_f32_e32 v55, 0x3eedf032, v15
	v_add_f32_e32 v38, v50, v38
	v_fma_f32 v49, 0x3f62ad3f, v36, -v49
	v_add_f32_e32 v39, v51, v39
	v_add_f32_e32 v50, v52, v54
	v_fmamk_f32 v51, v11, 0x3f62ad3f, v55
	v_mul_f32_e32 v52, 0xbf7e222b, v23
	v_add_f32_e32 v38, v49, v38
	v_fma_f32 v48, 0xbeb58ec6, v46, -v48
	v_fma_f32 v26, 0xbeb58ec6, v4, -v26
	v_add_f32_e32 v49, v51, v50
	v_fmamk_f32 v50, v22, 0x3df6dbef, v52
	v_mul_f32_e32 v51, 0x3e750f2a, v37
	v_add_f32_e32 v38, v48, v38
	v_add_f32_e32 v26, v20, v26
	v_fma_f32 v48, 0xbf3f9e67, v9, -v53
	v_add_f32_e32 v49, v50, v49
	v_fmamk_f32 v50, v36, 0xbf788fa5, v51
	v_mul_f32_e32 v53, 0x3f52af12, v47
	v_mul_f32_e32 v54, 0xbf7e222b, v0
	v_add_f32_e32 v26, v26, v48
	v_fma_f32 v48, 0x3f62ad3f, v11, -v55
	v_add_f32_e32 v49, v50, v49
	v_fmamk_f32 v50, v46, 0x3f116cb1, v53
	v_fmamk_f32 v55, v4, 0x3df6dbef, v54
	v_mul_f32_e32 v56, 0xbe750f2a, v10
	v_add_f32_e32 v26, v48, v26
	v_fma_f32 v48, 0x3df6dbef, v22, -v52
	v_add_f32_e32 v49, v50, v49
	v_add_f32_e32 v50, v20, v55
	v_fmamk_f32 v52, v9, 0xbf788fa5, v56
	v_mul_f32_e32 v55, 0x3f6f5d39, v15
	v_add_f32_e32 v26, v48, v26
	v_fma_f32 v48, 0xbf788fa5, v36, -v51
	v_fma_f32 v51, 0x3df6dbef, v4, -v54
	v_add_f32_e32 v50, v50, v52
	v_fmamk_f32 v52, v11, 0xbeb58ec6, v55
	v_mul_f32_e32 v54, 0x3eedf032, v23
	v_add_f32_e32 v26, v48, v26
	v_add_f32_e32 v48, v20, v51
	v_fma_f32 v51, 0xbf788fa5, v9, -v56
	v_add_f32_e32 v50, v52, v50
	v_fmamk_f32 v52, v22, 0x3f62ad3f, v54
	v_mul_f32_e32 v56, 0xbf52af12, v37
	v_fma_f32 v53, 0x3f116cb1, v46, -v53
	v_add_f32_e32 v48, v48, v51
	v_fma_f32 v51, 0xbeb58ec6, v11, -v55
	v_add_f32_e32 v50, v52, v50
	v_fmamk_f32 v52, v36, 0x3f116cb1, v56
	v_mul_f32_e32 v55, 0xbf52af12, v0
	v_add_f32_e32 v26, v53, v26
	v_add_f32_e32 v48, v51, v48
	v_fma_f32 v51, 0x3f62ad3f, v22, -v54
	v_add_f32_e32 v50, v52, v50
	v_fmamk_f32 v52, v4, 0x3f116cb1, v55
	v_mul_f32_e32 v53, 0xbf6f5d39, v10
	v_mul_f32_e32 v57, 0xbe750f2a, v15
	v_add_f32_e32 v48, v51, v48
	v_fma_f32 v51, 0x3f116cb1, v36, -v56
	v_add_f32_e32 v52, v20, v52
	v_fmamk_f32 v56, v9, 0xbeb58ec6, v53
	v_mul_f32_e32 v54, 0xbf29c268, v47
	v_fma_f32 v53, 0xbeb58ec6, v9, -v53
	v_add_f32_e32 v48, v51, v48
	v_fma_f32 v51, 0x3f116cb1, v4, -v55
	v_add_f32_e32 v52, v52, v56
	v_fmamk_f32 v55, v11, 0xbf788fa5, v57
	v_mul_f32_e32 v56, 0x3f29c268, v23
	v_add_f32_e32 v59, v20, v34
	v_add_f32_e32 v51, v20, v51
	v_fmamk_f32 v58, v46, 0xbf3f9e67, v54
	v_add_f32_e32 v52, v55, v52
	v_fmamk_f32 v55, v22, 0xbf3f9e67, v56
	v_fma_f32 v54, 0xbf3f9e67, v46, -v54
	v_add_f32_e32 v51, v51, v53
	v_fma_f32 v53, 0xbf788fa5, v11, -v57
	v_mul_f32_e32 v60, 0x3f7e222b, v37
	v_add_f32_e32 v52, v55, v52
	v_add_f32_e32 v55, v59, v32
	v_add_f32_e32 v48, v54, v48
	v_add_f32_e32 v51, v53, v51
	v_fma_f32 v53, 0xbf3f9e67, v22, -v56
	v_fmamk_f32 v57, v36, 0x3df6dbef, v60
	v_add_f32_e32 v54, v55, v18
	v_mul_f32_e32 v0, 0xbeedf032, v0
	v_mul_f32_e32 v10, 0xbf52af12, v10
	v_add_f32_e32 v51, v53, v51
	v_add_f32_e32 v52, v57, v52
	;; [unrolled: 1-line block ×3, first 2 shown]
	v_fma_f32 v54, 0x3df6dbef, v36, -v60
	v_fma_f32 v57, 0x3f62ad3f, v4, -v0
	v_fmamk_f32 v0, v4, 0x3f62ad3f, v0
	v_mul_f32_e32 v15, 0xbf7e222b, v15
	v_add_f32_e32 v53, v53, v16
	v_add_f32_e32 v51, v54, v51
	;; [unrolled: 1-line block ×3, first 2 shown]
	v_fma_f32 v54, 0x3f116cb1, v9, -v10
	v_add_f32_e32 v0, v20, v0
	v_add_f32_e32 v53, v53, v7
	v_fmamk_f32 v9, v9, 0x3f116cb1, v10
	v_fma_f32 v20, 0x3df6dbef, v11, -v15
	v_add_f32_e32 v4, v4, v54
	v_mul_f32_e32 v23, 0xbf6f5d39, v23
	v_add_f32_e32 v10, v53, v12
	v_add_f32_e32 v0, v0, v9
	v_fmamk_f32 v9, v11, 0x3df6dbef, v15
	v_add_f32_e32 v4, v20, v4
	v_fma_f32 v11, 0xbeb58ec6, v22, -v23
	v_add_f32_e32 v10, v24, v10
	v_mul_f32_e32 v15, 0xbf29c268, v37
	v_add_f32_e32 v0, v9, v0
	v_mul_f32_e32 v20, 0xbe750f2a, v47
	v_add_f32_e32 v4, v11, v4
	v_add_f32_e32 v9, v30, v10
	v_fmamk_f32 v10, v22, 0xbeb58ec6, v23
	v_fma_f32 v11, 0xbf3f9e67, v36, -v15
	v_mul_f32_e32 v55, 0x3eedf032, v47
	v_add_f32_e32 v9, v40, v9
	v_add_f32_e32 v0, v10, v0
	v_fmamk_f32 v10, v36, 0xbf3f9e67, v15
	v_add_f32_e32 v4, v11, v4
	v_fma_f32 v11, 0xbf788fa5, v46, -v20
	v_add_f32_e32 v9, v44, v9
	v_fma_f32 v15, 0x3f62ad3f, v46, -v55
	v_fmamk_f32 v56, v46, 0x3f62ad3f, v55
	v_add_f32_e32 v0, v10, v0
	v_fmamk_f32 v10, v46, 0xbf788fa5, v20
	v_add_f32_e32 v4, v11, v4
	v_add_f32_e32 v9, v42, v9
	v_mad_u32_u24 v11, v3, 52, 0
	v_add_f32_e32 v15, v15, v51
	v_add_f32_e32 v20, v58, v50
	;; [unrolled: 1-line block ×4, first 2 shown]
	ds_write2_b32 v11, v9, v4 offset1:1
	ds_write2_b32 v11, v15, v48 offset0:2 offset1:3
	ds_write2_b32 v11, v26, v38 offset0:4 offset1:5
	;; [unrolled: 1-line block ×5, first 2 shown]
	ds_write_b32 v11, v0 offset:48
.LBB0_13:
	s_or_b32 exec_lo, exec_lo, s1
	v_lshl_add_u32 v0, v3, 2, 0
	s_waitcnt vmcnt(0) lgkmcnt(0)
	s_barrier
	buffer_gl0_inv
	v_add_nc_u32_e32 v4, 0x900, v0
	v_add_nc_u32_e32 v46, 0x1200, v0
	;; [unrolled: 1-line block ×5, first 2 shown]
	ds_read2_b32 v[10:11], v0 offset1:156
	ds_read2_b32 v[38:39], v4 offset0:48 offset1:204
	ds_read2_b32 v[36:37], v46 offset0:96 offset1:252
	;; [unrolled: 1-line block ×5, first 2 shown]
	s_waitcnt lgkmcnt(0)
	s_barrier
	buffer_gl0_inv
	s_and_saveexec_b32 s1, s0
	s_cbranch_execz .LBB0_15
; %bb.14:
	v_add_f32_e32 v9, v21, v35
	v_sub_f32_e32 v20, v34, v42
	v_add_f32_e32 v34, v35, v43
	v_add_f32_e32 v35, v33, v45
	v_sub_f32_e32 v32, v32, v44
	v_add_f32_e32 v9, v9, v33
	v_mul_f32_e32 v33, 0xbeedf032, v20
	v_mul_f32_e32 v42, 0xbf52af12, v20
	;; [unrolled: 1-line block ×4, first 2 shown]
	v_add_f32_e32 v9, v9, v19
	v_mul_f32_e32 v51, 0xbf29c268, v20
	v_mul_f32_e32 v20, 0xbe750f2a, v20
	;; [unrolled: 1-line block ×4, first 2 shown]
	v_add_f32_e32 v9, v9, v29
	v_fmamk_f32 v56, v34, 0x3f62ad3f, v33
	v_fma_f32 v33, 0x3f62ad3f, v34, -v33
	v_fmamk_f32 v57, v34, 0x3f116cb1, v42
	v_fma_f32 v42, 0x3f116cb1, v34, -v42
	v_add_f32_e32 v9, v9, v17
	v_mul_f32_e32 v54, 0xbe750f2a, v32
	v_mul_f32_e32 v55, 0x3f29c268, v32
	v_fmamk_f32 v58, v34, 0x3df6dbef, v44
	v_fma_f32 v44, 0x3df6dbef, v34, -v44
	v_add_f32_e32 v9, v9, v8
	v_fmamk_f32 v59, v34, 0xbeb58ec6, v50
	v_fma_f32 v50, 0xbeb58ec6, v34, -v50
	v_fmamk_f32 v60, v34, 0xbf3f9e67, v51
	v_fma_f32 v51, 0xbf3f9e67, v34, -v51
	v_add_f32_e32 v9, v9, v13
	v_fmamk_f32 v61, v34, 0xbf788fa5, v20
	v_fma_f32 v20, 0xbf788fa5, v34, -v20
	;; [unrolled: 5-line block ×3, first 2 shown]
	v_add_f32_e32 v33, v21, v33
	v_add_f32_e32 v42, v21, v42
	;; [unrolled: 1-line block ×8, first 2 shown]
	v_fma_f32 v52, 0xbf788fa5, v35, -v54
	v_fmamk_f32 v53, v35, 0xbf3f9e67, v55
	v_sub_f32_e32 v18, v18, v40
	v_add_f32_e32 v56, v21, v56
	v_add_f32_e32 v9, v45, v9
	;; [unrolled: 1-line block ×7, first 2 shown]
	v_fmamk_f32 v43, v35, 0xbf788fa5, v54
	v_fma_f32 v54, 0xbf3f9e67, v35, -v55
	v_mul_f32_e32 v55, 0x3f7e222b, v32
	v_mul_f32_e32 v32, 0x3eedf032, v32
	v_add_f32_e32 v19, v19, v41
	v_mul_f32_e32 v41, 0xbf7e222b, v18
	v_add_f32_e32 v57, v21, v57
	v_fma_f32 v53, 0x3df6dbef, v35, -v55
	v_add_f32_e32 v58, v21, v58
	v_add_f32_e32 v60, v21, v60
	;; [unrolled: 1-line block ×6, first 2 shown]
	v_fmamk_f32 v40, v35, 0x3df6dbef, v55
	v_fmamk_f32 v54, v35, 0x3f62ad3f, v32
	v_fma_f32 v32, 0x3f62ad3f, v35, -v32
	v_add_f32_e32 v35, v51, v53
	v_fmamk_f32 v51, v19, 0x3df6dbef, v41
	v_mul_f32_e32 v53, 0xbe750f2a, v18
	v_add_f32_e32 v34, v57, v62
	v_add_f32_e32 v20, v20, v32
	v_fma_f32 v32, 0x3df6dbef, v19, -v41
	v_add_f32_e32 v21, v51, v21
	v_fmamk_f32 v41, v19, 0xbf788fa5, v53
	v_mul_f32_e32 v51, 0x3f6f5d39, v18
	v_add_f32_e32 v43, v58, v43
	v_sub_f32_e32 v28, v28, v30
	v_add_f32_e32 v40, v60, v40
	v_add_f32_e32 v34, v41, v34
	v_fmamk_f32 v41, v19, 0xbeb58ec6, v51
	v_fma_f32 v53, 0xbf788fa5, v19, -v53
	v_add_f32_e32 v32, v32, v33
	v_mul_f32_e32 v33, 0x3eedf032, v18
	v_add_f32_e32 v29, v29, v31
	v_add_f32_e32 v41, v41, v43
	v_mul_f32_e32 v43, 0xbf52af12, v18
	v_mul_f32_e32 v18, 0xbf29c268, v18
	;; [unrolled: 1-line block ×3, first 2 shown]
	v_add_f32_e32 v42, v53, v42
	v_fma_f32 v51, 0xbeb58ec6, v19, -v51
	v_fmamk_f32 v30, v19, 0x3f116cb1, v43
	v_fma_f32 v43, 0x3f116cb1, v19, -v43
	v_fmamk_f32 v53, v19, 0x3f62ad3f, v33
	v_fma_f32 v33, 0x3f62ad3f, v19, -v33
	v_add_f32_e32 v45, v45, v54
	v_add_f32_e32 v30, v30, v40
	v_fmamk_f32 v40, v19, 0xbf3f9e67, v18
	v_add_f32_e32 v35, v43, v35
	v_fma_f32 v18, 0xbf3f9e67, v19, -v18
	v_fmamk_f32 v19, v29, 0xbeb58ec6, v31
	v_mul_f32_e32 v43, 0x3f29c268, v28
	v_fma_f32 v31, 0xbeb58ec6, v29, -v31
	v_add_f32_e32 v33, v33, v50
	v_add_f32_e32 v18, v18, v20
	;; [unrolled: 1-line block ×3, first 2 shown]
	v_fmamk_f32 v20, v29, 0xbf3f9e67, v43
	v_mul_f32_e32 v21, 0x3eedf032, v28
	v_add_f32_e32 v31, v31, v32
	v_fma_f32 v32, 0xbf3f9e67, v29, -v43
	v_mul_f32_e32 v43, 0xbf7e222b, v28
	v_add_f32_e32 v20, v20, v34
	v_fmamk_f32 v34, v29, 0x3f62ad3f, v21
	v_sub_f32_e32 v16, v16, v24
	v_add_f32_e32 v32, v32, v42
	v_fmamk_f32 v42, v29, 0x3df6dbef, v43
	v_fma_f32 v43, 0x3df6dbef, v29, -v43
	v_add_f32_e32 v34, v34, v41
	v_mul_f32_e32 v41, 0x3e750f2a, v28
	v_mul_f32_e32 v24, 0x3f52af12, v28
	v_add_f32_e32 v40, v40, v45
	v_add_f32_e32 v33, v43, v33
	;; [unrolled: 1-line block ×3, first 2 shown]
	v_fmamk_f32 v28, v29, 0xbf788fa5, v41
	v_fma_f32 v41, 0xbf788fa5, v29, -v41
	v_mul_f32_e32 v25, 0xbf29c268, v16
	v_fmamk_f32 v43, v29, 0x3f116cb1, v24
	v_fma_f32 v24, 0x3f116cb1, v29, -v24
	v_add_f32_e32 v44, v51, v44
	v_fma_f32 v21, 0x3f62ad3f, v29, -v21
	v_add_f32_e32 v28, v28, v30
	v_add_f32_e32 v30, v41, v35
	v_fmamk_f32 v29, v17, 0xbf3f9e67, v25
	v_add_f32_e32 v35, v43, v40
	v_mul_f32_e32 v40, 0x3f7e222b, v16
	v_fma_f32 v25, 0xbf3f9e67, v17, -v25
	v_add_f32_e32 v18, v24, v18
	v_mul_f32_e32 v24, 0xbf52af12, v16
	v_add_f32_e32 v21, v21, v44
	v_add_f32_e32 v19, v29, v19
	v_fmamk_f32 v29, v17, 0x3df6dbef, v40
	v_add_f32_e32 v25, v25, v31
	v_fma_f32 v31, 0x3df6dbef, v17, -v40
	v_mul_f32_e32 v40, 0x3e750f2a, v16
	v_fmamk_f32 v41, v17, 0x3f116cb1, v24
	v_fma_f32 v24, 0x3f116cb1, v17, -v24
	v_add_f32_e32 v20, v29, v20
	v_add_f32_e32 v29, v31, v32
	v_sub_f32_e32 v7, v7, v12
	v_add_f32_e32 v32, v41, v34
	v_fma_f32 v34, 0xbf788fa5, v17, -v40
	v_add_f32_e32 v21, v24, v21
	v_mul_f32_e32 v24, 0x3eedf032, v16
	v_mul_f32_e32 v16, 0xbf6f5d39, v16
	v_add_f32_e32 v8, v8, v13
	v_add_f32_e32 v33, v34, v33
	v_mul_f32_e32 v13, 0xbe750f2a, v7
	v_fmamk_f32 v12, v17, 0x3f62ad3f, v24
	v_fma_f32 v24, 0x3f62ad3f, v17, -v24
	v_fmamk_f32 v34, v17, 0xbeb58ec6, v16
	v_fma_f32 v16, 0xbeb58ec6, v17, -v16
	v_add_f32_e32 v51, v53, v52
	v_fmamk_f32 v31, v17, 0xbf788fa5, v40
	v_add_f32_e32 v12, v12, v28
	v_add_f32_e32 v17, v24, v30
	v_fmamk_f32 v28, v8, 0xbf788fa5, v13
	v_mul_f32_e32 v30, 0x3eedf032, v7
	v_add_f32_e32 v16, v16, v18
	v_mul_f32_e32 v18, 0xbf29c268, v7
	v_fma_f32 v13, 0xbf788fa5, v8, -v13
	v_add_f32_e32 v42, v42, v51
	v_add_f32_e32 v24, v34, v35
	;; [unrolled: 1-line block ×3, first 2 shown]
	v_fmamk_f32 v28, v8, 0x3f62ad3f, v30
	v_fma_f32 v30, 0x3f62ad3f, v8, -v30
	v_fmamk_f32 v34, v8, 0xbf3f9e67, v18
	v_add_f32_e32 v13, v13, v25
	v_mul_f32_e32 v25, 0x3f52af12, v7
	v_add_f32_e32 v31, v31, v42
	v_add_f32_e32 v20, v28, v20
	;; [unrolled: 1-line block ×4, first 2 shown]
	v_fma_f32 v18, 0xbf3f9e67, v8, -v18
	v_fmamk_f32 v30, v8, 0x3f116cb1, v25
	v_mul_f32_e32 v32, 0xbf6f5d39, v7
	v_mul_f32_e32 v7, 0x3f7e222b, v7
	v_fma_f32 v25, 0x3f116cb1, v8, -v25
	v_add_f32_e32 v18, v18, v21
	v_add_f32_e32 v21, v30, v31
	v_fmamk_f32 v30, v8, 0xbeb58ec6, v32
	v_fmamk_f32 v31, v8, 0x3df6dbef, v7
	v_fma_f32 v7, 0x3df6dbef, v8, -v7
	v_fma_f32 v8, 0xbeb58ec6, v8, -v32
	v_mad_u32_u24 v32, v3, 48, v0
	v_add_f32_e32 v12, v30, v12
	v_add_f32_e32 v24, v31, v24
	;; [unrolled: 1-line block ×5, first 2 shown]
	ds_write2_b32 v32, v9, v19 offset1:1
	ds_write2_b32 v32, v20, v29 offset0:2 offset1:3
	ds_write2_b32 v32, v21, v12 offset0:4 offset1:5
	;; [unrolled: 1-line block ×5, first 2 shown]
	ds_write_b32 v32, v13 offset:48
.LBB0_15:
	s_or_b32 exec_lo, exec_lo, s1
	v_and_b32_e32 v8, 0xff, v3
	v_add_nc_u32_e32 v24, 0x9c, v3
	v_mov_b32_e32 v12, 0x4ec5
	v_mov_b32_e32 v13, 4
	s_load_dwordx2 s[0:1], s[4:5], 0x0
	v_mul_lo_u16 v7, 0x4f, v8
	s_waitcnt lgkmcnt(0)
	v_mul_u32_u24_sdwa v9, v24, v12 dst_sel:DWORD dst_unused:UNUSED_PAD src0_sel:WORD_0 src1_sel:DWORD
	s_barrier
	buffer_gl0_inv
	v_lshrrev_b16 v25, 10, v7
	v_mul_lo_u16 v8, 0xa5, v8
	v_lshrrev_b32_e32 v51, 18, v9
	v_mul_lo_u16 v7, v25, 13
	v_lshrrev_b16 v8, 8, v8
	v_mul_lo_u16 v20, v51, 13
	v_sub_nc_u16 v50, v3, v7
	v_add_nc_u32_e32 v7, 0x138, v3
	v_sub_nc_u16 v52, v24, v20
	v_lshlrev_b32_sdwa v9, v13, v50 dst_sel:DWORD dst_unused:UNUSED_PAD src0_sel:DWORD src1_sel:BYTE_0
	v_lshlrev_b32_sdwa v20, v13, v52 dst_sel:DWORD dst_unused:UNUSED_PAD src0_sel:DWORD src1_sel:WORD_0
	s_clause 0x1
	global_load_dwordx4 v[16:19], v9, s[12:13]
	global_load_dwordx4 v[28:31], v20, s[12:13]
	v_mul_u32_u24_sdwa v9, v7, v12 dst_sel:DWORD dst_unused:UNUSED_PAD src0_sel:WORD_0 src1_sel:DWORD
	v_lshrrev_b32_e32 v53, 18, v9
	v_mul_lo_u16 v9, v53, 13
	v_sub_nc_u16 v54, v7, v9
	v_lshlrev_b32_sdwa v9, v13, v54 dst_sel:DWORD dst_unused:UNUSED_PAD src0_sel:DWORD src1_sel:WORD_0
	global_load_dwordx4 v[32:35], v9, s[12:13]
	v_add_nc_u32_e32 v9, 0x1d4, v3
	v_mul_u32_u24_sdwa v12, v9, v12 dst_sel:DWORD dst_unused:UNUSED_PAD src0_sel:WORD_0 src1_sel:DWORD
	v_lshrrev_b32_e32 v55, 18, v12
	v_mul_lo_u16 v12, v55, 13
	v_sub_nc_u16 v56, v9, v12
	v_lshlrev_b32_sdwa v12, v13, v56 dst_sel:DWORD dst_unused:UNUSED_PAD src0_sel:DWORD src1_sel:WORD_0
	global_load_dwordx4 v[40:43], v12, s[12:13]
	ds_read2_b32 v[12:13], v4 offset0:48 offset1:204
	ds_read2_b32 v[20:21], v46 offset0:96 offset1:252
	;; [unrolled: 1-line block ×3, first 2 shown]
	s_waitcnt vmcnt(3) lgkmcnt(2)
	v_mul_f32_e32 v57, v12, v17
	v_mul_f32_e32 v58, v38, v17
	s_waitcnt lgkmcnt(1)
	v_mul_f32_e32 v17, v20, v19
	v_mul_f32_e32 v59, v36, v19
	v_fma_f32 v38, v38, v16, -v57
	v_fmac_f32_e32 v58, v12, v16
	v_fma_f32 v36, v36, v18, -v17
	v_fmac_f32_e32 v59, v20, v18
	s_waitcnt vmcnt(2)
	v_mul_f32_e32 v12, v13, v29
	v_mul_f32_e32 v20, v39, v29
	;; [unrolled: 1-line block ×4, first 2 shown]
	ds_read2_b32 v[16:17], v49 offset0:24 offset1:180
	v_fma_f32 v29, v39, v28, -v12
	v_fmac_f32_e32 v20, v13, v28
	v_fma_f32 v28, v37, v30, -v18
	v_fmac_f32_e32 v31, v21, v30
	v_sub_nc_u16 v30, v3, v8
	v_mov_b32_e32 v21, 0xa41b
	ds_read2_b32 v[12:13], v0 offset1:156
	v_mov_b32_e32 v57, 2
	ds_read2_b32 v[18:19], v47 offset0:56 offset1:212
	v_lshrrev_b16 v30, 1, v30
	s_waitcnt vmcnt(0) lgkmcnt(0)
	s_barrier
	v_lshlrev_b32_sdwa v50, v57, v50 dst_sel:DWORD dst_unused:UNUSED_PAD src0_sel:DWORD src1_sel:BYTE_0
	buffer_gl0_inv
	v_mul_f32_e32 v37, v44, v33
	v_mul_f32_e32 v33, v26, v33
	v_and_b32_e32 v30, 0x7f, v30
	v_fma_f32 v26, v26, v32, -v37
	v_fmac_f32_e32 v33, v44, v32
	v_mul_u32_u24_sdwa v32, v24, v21 dst_sel:DWORD dst_unused:UNUSED_PAD src0_sel:WORD_0 src1_sel:DWORD
	v_add_nc_u16 v8, v30, v8
	v_mul_f32_e32 v39, v16, v35
	v_mul_f32_e32 v35, v22, v35
	v_mov_b32_e32 v37, 3
	v_lshrrev_b32_e32 v32, 16, v32
	v_lshrrev_b16 v8, 5, v8
	v_fma_f32 v22, v22, v34, -v39
	v_fmac_f32_e32 v35, v16, v34
	v_mov_b32_e32 v16, 0x9c
	v_sub_nc_u16 v30, v24, v32
	v_and_b32_e32 v8, 7, v8
	v_mul_u32_u24_e32 v34, 0x9c, v53
	v_mul_u32_u24_e32 v39, 0x9c, v55
	v_mul_u32_u24_sdwa v16, v25, v16 dst_sel:DWORD dst_unused:UNUSED_PAD src0_sel:WORD_0 src1_sel:DWORD
	v_lshrrev_b16 v30, 1, v30
	v_mul_u32_u24_e32 v25, 0x9c, v51
	v_lshlrev_b32_sdwa v51, v57, v52 dst_sel:DWORD dst_unused:UNUSED_PAD src0_sel:DWORD src1_sel:WORD_0
	v_lshlrev_b32_sdwa v52, v57, v54 dst_sel:DWORD dst_unused:UNUSED_PAD src0_sel:DWORD src1_sel:WORD_0
	v_add3_u32 v16, 0, v16, v50
	v_add_nc_u16 v30, v30, v32
	v_mul_lo_u16 v32, v8, 39
	v_add3_u32 v51, 0, v25, v51
	v_lshlrev_b32_sdwa v53, v57, v56 dst_sel:DWORD dst_unused:UNUSED_PAD src0_sel:DWORD src1_sel:WORD_0
	v_mul_f32_e32 v25, v45, v41
	v_add3_u32 v52, 0, v34, v52
	v_sub_nc_u16 v50, v3, v32
	v_mul_f32_e32 v34, v27, v41
	v_mul_f32_e32 v41, v17, v43
	v_fma_f32 v25, v27, v40, -v25
	v_mul_f32_e32 v27, v23, v43
	v_mul_u32_u24_sdwa v32, v50, v37 dst_sel:DWORD dst_unused:UNUSED_PAD src0_sel:BYTE_0 src1_sel:DWORD
	v_add3_u32 v39, 0, v39, v53
	v_lshrrev_b16 v53, 5, v30
	v_fmac_f32_e32 v34, v45, v40
	v_fma_f32 v23, v23, v42, -v41
	v_fmac_f32_e32 v27, v17, v42
	v_add_f32_e32 v17, v10, v38
	v_add_f32_e32 v30, v38, v36
	;; [unrolled: 1-line block ×4, first 2 shown]
	v_mul_u32_u24_sdwa v21, v7, v21 dst_sel:DWORD dst_unused:UNUSED_PAD src0_sel:WORD_0 src1_sel:DWORD
	v_add_f32_e32 v45, v29, v28
	v_add_f32_e32 v55, v13, v20
	v_lshlrev_b32_e32 v43, 3, v32
	v_sub_f32_e32 v32, v58, v59
	v_add_f32_e32 v41, v58, v59
	v_sub_f32_e32 v54, v20, v31
	v_add_f32_e32 v20, v20, v31
	v_add_f32_e32 v58, v26, v22
	v_sub_f32_e32 v38, v38, v36
	v_sub_f32_e32 v29, v29, v28
	v_add_f32_e32 v56, v14, v26
	v_sub_f32_e32 v60, v33, v35
	v_add_f32_e32 v17, v17, v36
	v_add_f32_e32 v36, v18, v33
	v_add_f32_e32 v33, v33, v35
	v_add_f32_e32 v40, v40, v59
	v_add_f32_e32 v59, v15, v25
	v_add_f32_e32 v28, v42, v28
	v_add_f32_e32 v42, v25, v23
	v_fma_f32 v10, -0.5, v30, v10
	v_lshrrev_b32_e32 v21, 16, v21
	v_fmac_f32_e32 v11, -0.5, v45
	v_add_f32_e32 v55, v55, v31
	v_add_f32_e32 v31, v19, v34
	v_sub_f32_e32 v45, v34, v27
	v_add_f32_e32 v34, v34, v27
	v_fma_f32 v12, -0.5, v41, v12
	v_fmac_f32_e32 v13, -0.5, v20
	v_fma_f32 v14, -0.5, v58, v14
	v_sub_f32_e32 v26, v26, v22
	v_sub_f32_e32 v25, v25, v23
	v_add_f32_e32 v20, v56, v22
	v_fma_f32 v18, -0.5, v33, v18
	v_add_f32_e32 v22, v59, v23
	v_fmac_f32_e32 v15, -0.5, v42
	v_fmamk_f32 v23, v32, 0x3f5db3d7, v10
	v_sub_nc_u16 v44, v7, v21
	v_fmac_f32_e32 v10, 0xbf5db3d7, v32
	v_add_f32_e32 v35, v36, v35
	v_add_f32_e32 v36, v31, v27
	v_fmamk_f32 v27, v54, 0x3f5db3d7, v11
	v_fmac_f32_e32 v11, 0xbf5db3d7, v54
	v_fmac_f32_e32 v19, -0.5, v34
	v_fmamk_f32 v41, v38, 0xbf5db3d7, v12
	v_fmac_f32_e32 v12, 0x3f5db3d7, v38
	v_fmamk_f32 v38, v29, 0xbf5db3d7, v13
	v_fmac_f32_e32 v13, 0x3f5db3d7, v29
	;; [unrolled: 2-line block ×5, first 2 shown]
	ds_write2_b32 v16, v17, v23 offset1:13
	ds_write_b32 v16, v10 offset:104
	ds_write2_b32 v51, v28, v27 offset1:13
	ds_write_b32 v51, v11 offset:104
	;; [unrolled: 2-line block ×4, first 2 shown]
	v_mul_lo_u16 v14, v53, 39
	v_lshrrev_b16 v15, 1, v44
	v_fmamk_f32 v45, v25, 0xbf5db3d7, v19
	v_fmac_f32_e32 v19, 0x3f5db3d7, v25
	s_waitcnt lgkmcnt(0)
	s_barrier
	buffer_gl0_inv
	ds_read2_b32 v[22:23], v0 offset1:156
	ds_read2_b32 v[25:26], v47 offset0:56 offset1:212
	ds_read2_b32 v[27:28], v48 offset0:40 offset1:196
	;; [unrolled: 1-line block ×5, first 2 shown]
	s_waitcnt lgkmcnt(0)
	s_barrier
	buffer_gl0_inv
	ds_write2_b32 v16, v40, v41 offset1:13
	ds_write_b32 v16, v12 offset:104
	ds_write2_b32 v51, v55, v38 offset1:13
	ds_write_b32 v51, v13 offset:104
	;; [unrolled: 2-line block ×4, first 2 shown]
	s_waitcnt lgkmcnt(0)
	s_barrier
	buffer_gl0_inv
	global_load_dwordx4 v[10:13], v43, s[12:13] offset:208
	v_sub_nc_u16 v45, v24, v14
	v_add_nc_u16 v14, v15, v21
	global_load_dwordx2 v[35:36], v43, s[12:13] offset:224
	v_lshlrev_b32_sdwa v50, v57, v50 dst_sel:DWORD dst_unused:UNUSED_PAD src0_sel:DWORD src1_sel:BYTE_0
	v_mul_u32_u24_sdwa v15, v45, v37 dst_sel:DWORD dst_unused:UNUSED_PAD src0_sel:WORD_0 src1_sel:DWORD
	v_lshrrev_b16 v51, 5, v14
	v_lshlrev_b32_sdwa v45, v57, v45 dst_sel:DWORD dst_unused:UNUSED_PAD src0_sel:DWORD src1_sel:WORD_0
	v_lshlrev_b32_e32 v18, 3, v15
	v_mul_lo_u16 v19, v51, 39
	global_load_dwordx4 v[14:17], v18, s[12:13] offset:208
	v_sub_nc_u16 v52, v7, v19
	v_mul_u32_u24_sdwa v19, v52, v37 dst_sel:DWORD dst_unused:UNUSED_PAD src0_sel:WORD_0 src1_sel:DWORD
	v_lshlrev_b32_sdwa v52, v57, v52 dst_sel:DWORD dst_unused:UNUSED_PAD src0_sel:DWORD src1_sel:WORD_0
	v_lshlrev_b32_e32 v39, 3, v19
	s_clause 0x2
	global_load_dwordx2 v[37:38], v18, s[12:13] offset:224
	global_load_dwordx4 v[18:21], v39, s[12:13] offset:208
	global_load_dwordx2 v[39:40], v39, s[12:13] offset:224
	ds_read2_b32 v[41:42], v47 offset0:56 offset1:212
	ds_read2_b32 v[43:44], v48 offset0:40 offset1:196
	s_waitcnt vmcnt(5) lgkmcnt(1)
	v_mul_f32_e32 v54, v42, v11
	v_mul_f32_e32 v55, v26, v11
	s_waitcnt lgkmcnt(0)
	v_mul_f32_e32 v11, v43, v13
	v_mul_f32_e32 v56, v27, v13
	v_mov_b32_e32 v13, 0x270
	v_fma_f32 v54, v26, v10, -v54
	v_fmac_f32_e32 v55, v42, v10
	v_fma_f32 v58, v27, v12, -v11
	ds_read2_b32 v[10:11], v4 offset0:48 offset1:204
	v_fmac_f32_e32 v56, v43, v12
	v_mul_u32_u24_sdwa v43, v53, v13 dst_sel:DWORD dst_unused:UNUSED_PAD src0_sel:WORD_0 src1_sel:DWORD
	v_mul_u32_u24_sdwa v51, v51, v13 dst_sel:DWORD dst_unused:UNUSED_PAD src0_sel:WORD_0 src1_sel:DWORD
	;; [unrolled: 1-line block ×3, first 2 shown]
	ds_read2_b32 v[12:13], v46 offset0:96 offset1:252
	ds_read2_b32 v[26:27], v49 offset0:24 offset1:180
	v_mul_u32_u24_e32 v42, 5, v3
	v_add3_u32 v45, 0, v43, v45
	s_waitcnt vmcnt(3)
	v_mul_f32_e32 v43, v44, v17
	v_mul_f32_e32 v17, v28, v17
	v_add3_u32 v8, 0, v8, v50
	v_lshlrev_b32_e32 v53, 3, v42
	v_add3_u32 v51, 0, v51, v52
	v_fma_f32 v28, v28, v16, -v43
	ds_read2_b32 v[42:43], v0 offset1:156
	v_fmac_f32_e32 v17, v44, v16
	s_waitcnt vmcnt(0) lgkmcnt(0)
	s_barrier
	buffer_gl0_inv
	v_mul_f32_e32 v50, v10, v15
	v_mul_f32_e32 v15, v31, v15
	;; [unrolled: 1-line block ×3, first 2 shown]
	v_fma_f32 v31, v31, v14, -v50
	v_fmac_f32_e32 v15, v10, v14
	v_mul_f32_e32 v10, v30, v36
	v_mul_f32_e32 v14, v26, v38
	;; [unrolled: 1-line block ×4, first 2 shown]
	v_fma_f32 v16, v30, v35, -v16
	v_fmac_f32_e32 v10, v13, v35
	v_mul_f32_e32 v13, v32, v19
	v_mul_f32_e32 v19, v12, v21
	v_fmac_f32_e32 v36, v26, v37
	v_mul_f32_e32 v21, v29, v21
	v_mul_f32_e32 v26, v27, v40
	v_fma_f32 v30, v32, v18, -v38
	v_mul_f32_e32 v32, v34, v40
	v_fma_f32 v14, v33, v37, -v14
	v_fmac_f32_e32 v13, v11, v18
	v_fma_f32 v11, v29, v20, -v19
	v_fmac_f32_e32 v21, v12, v20
	;; [unrolled: 2-line block ×3, first 2 shown]
	v_sub_f32_e32 v19, v42, v56
	v_sub_f32_e32 v10, v55, v10
	;; [unrolled: 1-line block ×12, first 2 shown]
	v_fma_f32 v28, v42, 2.0, -v19
	v_fma_f32 v32, v55, 2.0, -v10
	;; [unrolled: 1-line block ×4, first 2 shown]
	v_add_f32_e32 v16, v19, v16
	v_fma_f32 v23, v23, 2.0, -v20
	v_fma_f32 v33, v43, 2.0, -v17
	;; [unrolled: 1-line block ×8, first 2 shown]
	v_sub_f32_e32 v32, v28, v32
	v_sub_f32_e32 v10, v18, v10
	v_add_f32_e32 v12, v21, v12
	v_sub_f32_e32 v29, v22, v29
	v_sub_f32_e32 v26, v20, v26
	v_add_f32_e32 v14, v17, v14
	v_fma_f32 v35, v19, 2.0, -v16
	v_sub_f32_e32 v19, v23, v31
	v_sub_f32_e32 v15, v33, v15
	;; [unrolled: 1-line block ×5, first 2 shown]
	v_fma_f32 v36, v28, 2.0, -v32
	v_fma_f32 v18, v18, 2.0, -v10
	v_fma_f32 v31, v21, 2.0, -v12
	v_fma_f32 v21, v22, 2.0, -v29
	v_fma_f32 v20, v20, 2.0, -v26
	v_fma_f32 v17, v17, 2.0, -v14
	v_fma_f32 v22, v23, 2.0, -v19
	v_fma_f32 v33, v33, 2.0, -v15
	v_fma_f32 v11, v11, 2.0, -v27
	v_fma_f32 v23, v25, 2.0, -v30
	v_fma_f32 v34, v34, 2.0, -v13
	ds_write2_b32 v8, v29, v10 offset0:78 offset1:117
	ds_write2_b32 v8, v21, v18 offset1:39
	ds_write2_b32 v45, v22, v20 offset1:39
	ds_write2_b32 v45, v19, v26 offset0:78 offset1:117
	ds_write2_b32 v51, v23, v11 offset1:39
	ds_write2_b32 v51, v30, v27 offset0:78 offset1:117
	s_waitcnt lgkmcnt(0)
	s_barrier
	buffer_gl0_inv
	ds_read2_b32 v[18:19], v0 offset1:156
	ds_read2_b32 v[20:21], v47 offset0:56 offset1:212
	ds_read2_b32 v[22:23], v4 offset0:48 offset1:204
	;; [unrolled: 1-line block ×5, first 2 shown]
	s_waitcnt lgkmcnt(0)
	s_barrier
	buffer_gl0_inv
	ds_write2_b32 v8, v36, v35 offset1:39
	ds_write2_b32 v8, v32, v16 offset0:78 offset1:117
	ds_write2_b32 v45, v33, v17 offset1:39
	ds_write2_b32 v45, v15, v14 offset0:78 offset1:117
	;; [unrolled: 2-line block ×3, first 2 shown]
	s_waitcnt lgkmcnt(0)
	s_barrier
	buffer_gl0_inv
	s_clause 0x2
	global_load_dwordx4 v[10:13], v53, s[12:13] offset:1144
	global_load_dwordx4 v[14:17], v53, s[12:13] offset:1160
	global_load_dwordx2 v[31:32], v53, s[12:13] offset:1176
	ds_read2_b32 v[33:34], v47 offset0:56 offset1:212
	ds_read2_b32 v[35:36], v4 offset0:48 offset1:204
	;; [unrolled: 1-line block ×5, first 2 shown]
	ds_read2_b32 v[43:44], v0 offset1:156
	s_waitcnt vmcnt(0) lgkmcnt(0)
	s_barrier
	buffer_gl0_inv
	v_mul_f32_e32 v8, v33, v11
	v_mul_f32_e32 v45, v20, v11
	;; [unrolled: 1-line block ×14, first 2 shown]
	v_fma_f32 v8, v20, v10, -v8
	v_fma_f32 v20, v21, v10, -v57
	v_fmac_f32_e32 v45, v33, v10
	v_fmac_f32_e32 v11, v34, v10
	v_mul_f32_e32 v10, v26, v15
	v_fma_f32 v22, v22, v12, -v50
	v_fma_f32 v23, v23, v12, -v59
	v_fmac_f32_e32 v51, v35, v12
	v_fmac_f32_e32 v13, v36, v12
	v_mul_f32_e32 v12, v30, v32
	v_mul_f32_e32 v21, v38, v15
	;; [unrolled: 1-line block ×5, first 2 shown]
	v_fmac_f32_e32 v53, v37, v14
	v_fmac_f32_e32 v58, v41, v31
	v_fma_f32 v25, v25, v14, -v52
	v_fma_f32 v29, v29, v31, -v56
	;; [unrolled: 1-line block ×3, first 2 shown]
	v_fmac_f32_e32 v55, v39, v16
	v_fmac_f32_e32 v10, v38, v14
	;; [unrolled: 1-line block ×3, first 2 shown]
	v_fma_f32 v21, v26, v14, -v21
	v_fma_f32 v14, v28, v16, -v15
	v_fmac_f32_e32 v17, v40, v16
	v_fma_f32 v15, v30, v31, -v33
	v_add_f32_e32 v36, v53, v58
	v_add_f32_e32 v33, v25, v29
	;; [unrolled: 1-line block ×3, first 2 shown]
	v_sub_f32_e32 v28, v51, v55
	v_add_f32_e32 v30, v43, v51
	v_add_f32_e32 v31, v51, v55
	v_add_f32_e32 v35, v45, v53
	v_sub_f32_e32 v50, v10, v12
	v_add_f32_e32 v51, v11, v10
	v_add_f32_e32 v10, v10, v12
	;; [unrolled: 1-line block ×4, first 2 shown]
	v_sub_f32_e32 v39, v13, v17
	v_add_f32_e32 v40, v44, v13
	v_add_f32_e32 v13, v13, v17
	;; [unrolled: 1-line block ×3, first 2 shown]
	v_sub_f32_e32 v25, v25, v29
	v_add_f32_e32 v37, v19, v23
	v_add_f32_e32 v41, v20, v21
	v_fmac_f32_e32 v45, -0.5, v36
	v_sub_f32_e32 v34, v53, v58
	v_fmac_f32_e32 v8, -0.5, v33
	v_sub_f32_e32 v21, v21, v15
	v_fma_f32 v18, -0.5, v26, v18
	v_add_f32_e32 v26, v30, v55
	v_add_f32_e32 v30, v35, v58
	v_fmac_f32_e32 v11, -0.5, v10
	v_sub_f32_e32 v22, v22, v27
	v_add_f32_e32 v38, v23, v14
	v_sub_f32_e32 v23, v23, v14
	v_add_f32_e32 v16, v16, v27
	v_fma_f32 v27, -0.5, v31, v43
	v_add_f32_e32 v29, v32, v29
	v_fmac_f32_e32 v44, -0.5, v13
	v_fmac_f32_e32 v20, -0.5, v42
	v_add_f32_e32 v14, v37, v14
	v_add_f32_e32 v31, v40, v17
	v_add_f32_e32 v13, v41, v15
	v_fmamk_f32 v17, v25, 0xbf5db3d7, v45
	v_fmamk_f32 v15, v34, 0x3f5db3d7, v8
	v_fmac_f32_e32 v8, 0xbf5db3d7, v34
	v_fmac_f32_e32 v45, 0x3f5db3d7, v25
	v_add_f32_e32 v25, v26, v30
	v_sub_f32_e32 v26, v26, v30
	v_fmamk_f32 v30, v21, 0xbf5db3d7, v11
	v_add_f32_e32 v32, v51, v12
	v_fmamk_f32 v12, v22, 0xbf5db3d7, v27
	v_fmac_f32_e32 v27, 0x3f5db3d7, v22
	v_add_f32_e32 v22, v16, v29
	v_sub_f32_e32 v16, v16, v29
	v_fmamk_f32 v29, v23, 0xbf5db3d7, v44
	v_fmac_f32_e32 v44, 0x3f5db3d7, v23
	v_fmamk_f32 v23, v50, 0x3f5db3d7, v20
	v_fmac_f32_e32 v20, 0xbf5db3d7, v50
	v_fmac_f32_e32 v11, 0x3f5db3d7, v21
	v_add_f32_e32 v21, v14, v13
	v_sub_f32_e32 v13, v14, v13
	v_mul_f32_e32 v14, 0x3f5db3d7, v17
	v_mul_f32_e32 v33, -0.5, v8
	v_fmac_f32_e32 v19, -0.5, v38
	v_mul_f32_e32 v34, 0xbf5db3d7, v15
	v_mul_f32_e32 v36, 0x3f5db3d7, v30
	v_mul_f32_e32 v37, -0.5, v20
	v_fmamk_f32 v10, v28, 0x3f5db3d7, v18
	v_mul_f32_e32 v35, -0.5, v45
	v_fmac_f32_e32 v14, 0.5, v15
	v_fmac_f32_e32 v18, 0xbf5db3d7, v28
	v_fmac_f32_e32 v33, 0x3f5db3d7, v45
	v_fmamk_f32 v28, v39, 0x3f5db3d7, v19
	v_fmac_f32_e32 v34, 0.5, v17
	v_fmac_f32_e32 v36, 0.5, v23
	v_fmac_f32_e32 v19, 0xbf5db3d7, v39
	v_fmac_f32_e32 v37, 0x3f5db3d7, v11
	v_mul_f32_e32 v39, -0.5, v11
	v_fmac_f32_e32 v35, 0xbf5db3d7, v8
	v_add_f32_e32 v8, v10, v14
	v_add_f32_e32 v11, v18, v33
	v_sub_f32_e32 v10, v10, v14
	v_sub_f32_e32 v14, v18, v33
	v_mul_f32_e32 v38, 0xbf5db3d7, v23
	v_add_f32_e32 v23, v12, v34
	v_sub_f32_e32 v33, v12, v34
	v_add_f32_e32 v12, v28, v36
	v_add_f32_e32 v15, v19, v37
	v_sub_f32_e32 v17, v28, v36
	v_sub_f32_e32 v18, v19, v37
	v_fmac_f32_e32 v39, 0xbf5db3d7, v20
	ds_write2_b32 v0, v22, v8 offset1:156
	ds_write2_b32 v47, v11, v16 offset0:56 offset1:212
	ds_write2_b32 v4, v10, v14 offset0:48 offset1:204
	;; [unrolled: 1-line block ×5, first 2 shown]
	s_waitcnt lgkmcnt(0)
	s_barrier
	buffer_gl0_inv
	ds_read2_b32 v[11:12], v0 offset1:156
	ds_read2_b32 v[17:18], v48 offset0:40 offset1:196
	ds_read2_b32 v[13:14], v47 offset0:56 offset1:212
	;; [unrolled: 1-line block ×5, first 2 shown]
	v_fmac_f32_e32 v38, 0.5, v30
	v_add_f32_e32 v30, v27, v35
	v_sub_f32_e32 v8, v27, v35
	v_add_f32_e32 v10, v31, v32
	v_add_f32_e32 v28, v44, v39
	v_add_f32_e32 v27, v29, v38
	v_sub_f32_e32 v31, v31, v32
	v_sub_f32_e32 v29, v29, v38
	v_sub_f32_e32 v32, v44, v39
	s_waitcnt lgkmcnt(0)
	s_barrier
	buffer_gl0_inv
	ds_write2_b32 v0, v25, v23 offset1:156
	ds_write2_b32 v47, v30, v26 offset0:56 offset1:212
	ds_write2_b32 v4, v33, v8 offset0:48 offset1:204
	;; [unrolled: 1-line block ×5, first 2 shown]
	s_waitcnt lgkmcnt(0)
	s_barrier
	buffer_gl0_inv
	s_and_saveexec_b32 s4, vcc_lo
	s_cbranch_execz .LBB0_17
; %bb.16:
	v_mov_b32_e32 v26, 0
	v_add_nc_u32_e32 v25, 0x30c, v3
	v_add_nc_u32_e32 v27, 0x270, v3
	v_mul_lo_u32 v6, s0, v6
	v_mad_u64_u32 v[40:41], null, s2, v3, 0
	v_mov_b32_e32 v28, v26
	v_lshlrev_b64 v[29:30], 3, v[25:26]
	v_mov_b32_e32 v10, v26
	v_mad_u64_u32 v[42:43], null, s2, v24, 0
	v_lshlrev_b64 v[31:32], 3, v[27:28]
	v_lshrrev_b32_e32 v48, 3, v9
	v_add_co_u32 v4, vcc_lo, s12, v29
	v_add_co_ci_u32_e32 v8, vcc_lo, s13, v30, vcc_lo
	v_add_co_u32 v23, vcc_lo, s12, v31
	v_add_co_ci_u32_e32 v31, vcc_lo, s13, v32, vcc_lo
	v_add_co_u32 v28, vcc_lo, 0x1800, v4
	v_lshlrev_b64 v[32:33], 3, v[9:10]
	v_add_co_ci_u32_e32 v29, vcc_lo, 0, v8, vcc_lo
	v_add_co_u32 v30, vcc_lo, 0x1800, v23
	v_mov_b32_e32 v8, v26
	v_add_co_ci_u32_e32 v31, vcc_lo, 0, v31, vcc_lo
	v_add_co_u32 v4, vcc_lo, s12, v32
	v_add_co_ci_u32_e32 v10, vcc_lo, s13, v33, vcc_lo
	v_lshlrev_b64 v[32:33], 3, v[7:8]
	v_add_co_u32 v34, vcc_lo, 0x1800, v4
	v_mov_b32_e32 v4, v26
	v_add_co_ci_u32_e32 v35, vcc_lo, 0, v10, vcc_lo
	v_add_co_u32 v8, vcc_lo, s12, v32
	v_add_co_ci_u32_e32 v10, vcc_lo, s13, v33, vcc_lo
	v_lshlrev_b64 v[32:33], 3, v[3:4]
	v_add_co_u32 v36, vcc_lo, 0x1800, v8
	s_clause 0x1
	global_load_dwordx2 v[28:29], v[28:29], off offset:1240
	global_load_dwordx2 v[30:31], v[30:31], off offset:1240
	v_add_co_ci_u32_e32 v37, vcc_lo, 0, v10, vcc_lo
	v_add_co_u32 v4, vcc_lo, s12, v32
	v_add_co_ci_u32_e32 v8, vcc_lo, s13, v33, vcc_lo
	s_clause 0x1
	global_load_dwordx2 v[32:33], v[34:35], off offset:1240
	global_load_dwordx2 v[34:35], v[36:37], off offset:1240
	v_add_co_u32 v36, vcc_lo, 0x2000, v4
	v_add_co_ci_u32_e32 v37, vcc_lo, 0, v8, vcc_lo
	v_add_co_u32 v38, vcc_lo, 0x1800, v4
	v_add_co_ci_u32_e32 v39, vcc_lo, 0, v8, vcc_lo
	s_clause 0x1
	global_load_dwordx2 v[36:37], v[36:37], off offset:440
	global_load_dwordx2 v[38:39], v[38:39], off offset:1240
	v_mul_lo_u32 v8, s1, v5
	v_mad_u64_u32 v[4:5], null, s0, v5, 0
	v_add_nc_u32_e32 v10, 0x3a8, v3
	v_add_nc_u32_e32 v26, 0x444, v3
	v_lshrrev_b32_e32 v23, 3, v7
	v_mul_hi_u32 v51, 0x8c08c09, v48
	v_lshrrev_b32_e32 v48, 3, v25
	v_mad_u64_u32 v[44:45], null, s2, v10, 0
	v_mad_u64_u32 v[46:47], null, s2, v26, 0
	v_mul_hi_u32 v50, 0x8c08c09, v23
	v_lshrrev_b32_e32 v23, 3, v27
	v_add3_u32 v5, v5, v6, v8
	v_mov_b32_e32 v6, v41
	v_mov_b32_e32 v8, v43
	v_mul_hi_u32 v43, 0x8c08c09, v48
	v_mul_hi_u32 v41, 0x8c08c09, v23
	v_lshlrev_b64 v[1:2], 3, v[1:2]
	v_mad_u64_u32 v[48:49], null, s3, v3, v[6:7]
	v_lshlrev_b64 v[3:4], 3, v[4:5]
	v_mov_b32_e32 v5, v45
	v_mad_u64_u32 v[23:24], null, s3, v24, v[8:9]
	v_mov_b32_e32 v6, v47
	v_lshrrev_b32_e32 v24, 2, v51
	v_lshrrev_b32_e32 v8, 2, v50
	v_add_nc_u32_e32 v58, 0xe00, v0
	v_mad_u64_u32 v[49:50], null, s3, v10, v[5:6]
	v_mad_u32_u24 v50, 0x3a8, v24, v9
	v_mad_u32_u24 v10, 0x3a8, v8, v7
	v_mad_u64_u32 v[5:6], null, s3, v26, v[6:7]
	v_add_co_u32 v24, vcc_lo, s10, v3
	v_mad_u64_u32 v[6:7], null, s2, v50, 0
	v_lshrrev_b32_e32 v8, 2, v41
	v_lshrrev_b32_e32 v9, 2, v43
	v_add_co_ci_u32_e32 v26, vcc_lo, s11, v4, vcc_lo
	v_add_nc_u32_e32 v51, 0x3a8, v10
	v_add_nc_u32_e32 v52, 0x3a8, v50
	v_add_co_u32 v59, vcc_lo, v24, v1
	v_mad_u64_u32 v[3:4], null, s2, v10, 0
	v_mov_b32_e32 v43, v23
	v_mad_u32_u24 v53, 0x3a8, v8, v27
	v_mad_u32_u24 v56, 0x3a8, v9, v25
	v_add_co_ci_u32_e32 v60, vcc_lo, v26, v2, vcc_lo
	v_mad_u64_u32 v[23:24], null, s2, v51, 0
	v_mad_u64_u32 v[25:26], null, s2, v52, 0
	v_mov_b32_e32 v45, v49
	v_mov_b32_e32 v47, v5
	;; [unrolled: 1-line block ×4, first 2 shown]
	v_add_nc_u32_e32 v54, 0x3a8, v53
	v_lshlrev_b64 v[8:9], 3, v[42:43]
	v_lshlrev_b64 v[42:43], 3, v[44:45]
	v_lshlrev_b64 v[44:45], 3, v[46:47]
	v_mad_u64_u32 v[46:47], null, s3, v10, v[4:5]
	v_mov_b32_e32 v4, v24
	v_mad_u64_u32 v[47:48], null, s3, v50, v[5:6]
	v_mov_b32_e32 v5, v26
	v_lshlrev_b64 v[1:2], 3, v[40:41]
	v_mad_u64_u32 v[40:41], null, s2, v53, 0
	v_mad_u64_u32 v[48:49], null, s2, v54, 0
	;; [unrolled: 1-line block ×5, first 2 shown]
	v_mov_b32_e32 v5, v41
	v_mov_b32_e32 v10, v49
	;; [unrolled: 1-line block ×4, first 2 shown]
	v_add_co_u32 v1, vcc_lo, v59, v1
	v_mad_u64_u32 v[46:47], null, s3, v53, v[5:6]
	v_mov_b32_e32 v5, v52
	v_mad_u64_u32 v[53:54], null, s3, v54, v[10:11]
	v_add_nc_u32_e32 v10, 0x3a8, v56
	v_add_co_ci_u32_e32 v2, vcc_lo, v60, v2, vcc_lo
	v_mad_u64_u32 v[54:55], null, s3, v56, v[5:6]
	v_mad_u64_u32 v[55:56], null, s2, v10, 0
	v_add_co_u32 v8, vcc_lo, v59, v8
	v_add_co_ci_u32_e32 v9, vcc_lo, v60, v9, vcc_lo
	v_add_co_u32 v42, vcc_lo, v59, v42
	v_mov_b32_e32 v5, v56
	v_lshlrev_b64 v[3:4], 3, v[3:4]
	v_mov_b32_e32 v24, v26
	v_add_co_ci_u32_e32 v43, vcc_lo, v60, v43, vcc_lo
	v_add_co_u32 v44, vcc_lo, v59, v44
	v_mad_u64_u32 v[56:57], null, s3, v10, v[5:6]
	v_lshlrev_b64 v[5:6], 3, v[6:7]
	v_mov_b32_e32 v26, v50
	v_add_co_ci_u32_e32 v45, vcc_lo, v60, v45, vcc_lo
	v_lshlrev_b64 v[23:24], 3, v[23:24]
	v_add_co_u32 v3, vcc_lo, v59, v3
	v_mov_b32_e32 v41, v46
	v_add_co_ci_u32_e32 v4, vcc_lo, v60, v4, vcc_lo
	v_add_nc_u32_e32 v47, 0x1800, v0
	v_lshlrev_b64 v[25:26], 3, v[25:26]
	v_add_co_u32 v5, vcc_lo, v59, v5
	v_add_nc_u32_e32 v50, 0x1200, v0
	v_mov_b32_e32 v52, v54
	v_add_co_ci_u32_e32 v6, vcc_lo, v60, v6, vcc_lo
	v_lshlrev_b64 v[40:41], 3, v[40:41]
	v_add_co_u32 v23, vcc_lo, v59, v23
	v_mov_b32_e32 v49, v53
	ds_read2_b32 v[46:47], v47 offset0:24 offset1:180
	ds_read2_b32 v[53:54], v50 offset0:96 offset1:252
	v_add_co_ci_u32_e32 v24, vcc_lo, v60, v24, vcc_lo
	v_lshlrev_b64 v[50:51], 3, v[51:52]
	v_add_co_u32 v25, vcc_lo, v59, v25
	v_add_co_ci_u32_e32 v26, vcc_lo, v60, v26, vcc_lo
	v_lshlrev_b64 v[48:49], 3, v[48:49]
	v_add_co_u32 v40, vcc_lo, v59, v40
	v_add_co_ci_u32_e32 v41, vcc_lo, v60, v41, vcc_lo
	v_lshlrev_b64 v[55:56], 3, v[55:56]
	v_add_co_u32 v50, vcc_lo, v59, v50
	v_add_co_ci_u32_e32 v51, vcc_lo, v60, v51, vcc_lo
	v_add_nc_u32_e32 v27, 0x900, v0
	v_add_co_u32 v48, vcc_lo, v59, v48
	v_add_co_ci_u32_e32 v49, vcc_lo, v60, v49, vcc_lo
	v_add_co_u32 v55, vcc_lo, v59, v55
	ds_read2_b32 v[57:58], v58 offset0:40 offset1:196
	v_add_co_ci_u32_e32 v56, vcc_lo, v60, v56, vcc_lo
	ds_read2_b32 v[59:60], v27 offset0:48 offset1:204
	s_waitcnt vmcnt(5) lgkmcnt(3)
	v_mul_f32_e32 v10, v47, v29
	v_mul_f32_e32 v7, v22, v29
	v_add_nc_u32_e32 v29, 0x400, v0
	s_waitcnt vmcnt(4)
	v_mul_f32_e32 v52, v21, v31
	v_fma_f32 v10, v22, v28, -v10
	v_mul_f32_e32 v22, v46, v31
	v_fmac_f32_e32 v7, v47, v28
	ds_read2_b32 v[27:28], v0 offset1:156
	v_fmac_f32_e32 v52, v46, v30
	s_waitcnt vmcnt(3)
	v_mul_f32_e32 v0, v20, v33
	v_fma_f32 v31, v21, v30, -v22
	ds_read2_b32 v[21:22], v29 offset0:56 offset1:212
	s_waitcnt lgkmcnt(4)
	v_mul_f32_e32 v30, v54, v33
	s_waitcnt vmcnt(2)
	v_mul_f32_e32 v33, v19, v35
	v_fmac_f32_e32 v0, v54, v32
	v_mul_f32_e32 v35, v53, v35
	v_sub_f32_e32 v29, v16, v10
	v_fma_f32 v20, v20, v32, -v30
	s_waitcnt vmcnt(1)
	v_mul_f32_e32 v46, v18, v37
	s_waitcnt lgkmcnt(3)
	v_mul_f32_e32 v32, v58, v37
	s_waitcnt vmcnt(0)
	v_mul_f32_e32 v37, v17, v39
	s_waitcnt lgkmcnt(2)
	v_sub_f32_e32 v30, v60, v7
	v_mul_f32_e32 v7, v57, v39
	v_fma_f32 v10, v19, v34, -v35
	v_fmac_f32_e32 v46, v58, v36
	v_fmac_f32_e32 v37, v57, v38
	v_fma_f32 v35, v18, v36, -v32
	v_fma_f32 v7, v17, v38, -v7
	v_fmac_f32_e32 v33, v53, v34
	s_waitcnt lgkmcnt(1)
	v_sub_f32_e32 v36, v28, v46
	v_sub_f32_e32 v38, v27, v37
	;; [unrolled: 1-line block ×4, first 2 shown]
	s_waitcnt lgkmcnt(0)
	v_sub_f32_e32 v34, v21, v33
	v_sub_f32_e32 v33, v13, v10
	;; [unrolled: 1-line block ×6, first 2 shown]
	v_fma_f32 v53, v27, 2.0, -v38
	v_fma_f32 v52, v11, 2.0, -v37
	;; [unrolled: 1-line block ×12, first 2 shown]
	global_store_dwordx2 v[1:2], v[52:53], off
	global_store_dwordx2 v[42:43], v[37:38], off
	;; [unrolled: 1-line block ×12, first 2 shown]
.LBB0_17:
	s_endpgm
	.section	.rodata,"a",@progbits
	.p2align	6, 0x0
	.amdhsa_kernel fft_rtc_fwd_len1872_factors_13_3_4_6_2_wgs_156_tpt_156_halfLds_sp_op_CI_CI_sbrr_dirReg
		.amdhsa_group_segment_fixed_size 0
		.amdhsa_private_segment_fixed_size 0
		.amdhsa_kernarg_size 104
		.amdhsa_user_sgpr_count 6
		.amdhsa_user_sgpr_private_segment_buffer 1
		.amdhsa_user_sgpr_dispatch_ptr 0
		.amdhsa_user_sgpr_queue_ptr 0
		.amdhsa_user_sgpr_kernarg_segment_ptr 1
		.amdhsa_user_sgpr_dispatch_id 0
		.amdhsa_user_sgpr_flat_scratch_init 0
		.amdhsa_user_sgpr_private_segment_size 0
		.amdhsa_wavefront_size32 1
		.amdhsa_uses_dynamic_stack 0
		.amdhsa_system_sgpr_private_segment_wavefront_offset 0
		.amdhsa_system_sgpr_workgroup_id_x 1
		.amdhsa_system_sgpr_workgroup_id_y 0
		.amdhsa_system_sgpr_workgroup_id_z 0
		.amdhsa_system_sgpr_workgroup_info 0
		.amdhsa_system_vgpr_workitem_id 0
		.amdhsa_next_free_vgpr 63
		.amdhsa_next_free_sgpr 31
		.amdhsa_reserve_vcc 1
		.amdhsa_reserve_flat_scratch 0
		.amdhsa_float_round_mode_32 0
		.amdhsa_float_round_mode_16_64 0
		.amdhsa_float_denorm_mode_32 3
		.amdhsa_float_denorm_mode_16_64 3
		.amdhsa_dx10_clamp 1
		.amdhsa_ieee_mode 1
		.amdhsa_fp16_overflow 0
		.amdhsa_workgroup_processor_mode 1
		.amdhsa_memory_ordered 1
		.amdhsa_forward_progress 0
		.amdhsa_shared_vgpr_count 0
		.amdhsa_exception_fp_ieee_invalid_op 0
		.amdhsa_exception_fp_denorm_src 0
		.amdhsa_exception_fp_ieee_div_zero 0
		.amdhsa_exception_fp_ieee_overflow 0
		.amdhsa_exception_fp_ieee_underflow 0
		.amdhsa_exception_fp_ieee_inexact 0
		.amdhsa_exception_int_div_zero 0
	.end_amdhsa_kernel
	.text
.Lfunc_end0:
	.size	fft_rtc_fwd_len1872_factors_13_3_4_6_2_wgs_156_tpt_156_halfLds_sp_op_CI_CI_sbrr_dirReg, .Lfunc_end0-fft_rtc_fwd_len1872_factors_13_3_4_6_2_wgs_156_tpt_156_halfLds_sp_op_CI_CI_sbrr_dirReg
                                        ; -- End function
	.section	.AMDGPU.csdata,"",@progbits
; Kernel info:
; codeLenInByte = 9992
; NumSgprs: 33
; NumVgprs: 63
; ScratchSize: 0
; MemoryBound: 0
; FloatMode: 240
; IeeeMode: 1
; LDSByteSize: 0 bytes/workgroup (compile time only)
; SGPRBlocks: 4
; VGPRBlocks: 7
; NumSGPRsForWavesPerEU: 33
; NumVGPRsForWavesPerEU: 63
; Occupancy: 15
; WaveLimiterHint : 1
; COMPUTE_PGM_RSRC2:SCRATCH_EN: 0
; COMPUTE_PGM_RSRC2:USER_SGPR: 6
; COMPUTE_PGM_RSRC2:TRAP_HANDLER: 0
; COMPUTE_PGM_RSRC2:TGID_X_EN: 1
; COMPUTE_PGM_RSRC2:TGID_Y_EN: 0
; COMPUTE_PGM_RSRC2:TGID_Z_EN: 0
; COMPUTE_PGM_RSRC2:TIDIG_COMP_CNT: 0
	.text
	.p2alignl 6, 3214868480
	.fill 48, 4, 3214868480
	.type	__hip_cuid_7d098251bc703fdf,@object ; @__hip_cuid_7d098251bc703fdf
	.section	.bss,"aw",@nobits
	.globl	__hip_cuid_7d098251bc703fdf
__hip_cuid_7d098251bc703fdf:
	.byte	0                               ; 0x0
	.size	__hip_cuid_7d098251bc703fdf, 1

	.ident	"AMD clang version 19.0.0git (https://github.com/RadeonOpenCompute/llvm-project roc-6.4.0 25133 c7fe45cf4b819c5991fe208aaa96edf142730f1d)"
	.section	".note.GNU-stack","",@progbits
	.addrsig
	.addrsig_sym __hip_cuid_7d098251bc703fdf
	.amdgpu_metadata
---
amdhsa.kernels:
  - .args:
      - .actual_access:  read_only
        .address_space:  global
        .offset:         0
        .size:           8
        .value_kind:     global_buffer
      - .offset:         8
        .size:           8
        .value_kind:     by_value
      - .actual_access:  read_only
        .address_space:  global
        .offset:         16
        .size:           8
        .value_kind:     global_buffer
      - .actual_access:  read_only
        .address_space:  global
        .offset:         24
        .size:           8
        .value_kind:     global_buffer
      - .actual_access:  read_only
        .address_space:  global
        .offset:         32
        .size:           8
        .value_kind:     global_buffer
      - .offset:         40
        .size:           8
        .value_kind:     by_value
      - .actual_access:  read_only
        .address_space:  global
        .offset:         48
        .size:           8
        .value_kind:     global_buffer
      - .actual_access:  read_only
        .address_space:  global
        .offset:         56
        .size:           8
        .value_kind:     global_buffer
      - .offset:         64
        .size:           4
        .value_kind:     by_value
      - .actual_access:  read_only
        .address_space:  global
        .offset:         72
        .size:           8
        .value_kind:     global_buffer
      - .actual_access:  read_only
        .address_space:  global
        .offset:         80
        .size:           8
        .value_kind:     global_buffer
      - .actual_access:  read_only
        .address_space:  global
        .offset:         88
        .size:           8
        .value_kind:     global_buffer
      - .actual_access:  write_only
        .address_space:  global
        .offset:         96
        .size:           8
        .value_kind:     global_buffer
    .group_segment_fixed_size: 0
    .kernarg_segment_align: 8
    .kernarg_segment_size: 104
    .language:       OpenCL C
    .language_version:
      - 2
      - 0
    .max_flat_workgroup_size: 156
    .name:           fft_rtc_fwd_len1872_factors_13_3_4_6_2_wgs_156_tpt_156_halfLds_sp_op_CI_CI_sbrr_dirReg
    .private_segment_fixed_size: 0
    .sgpr_count:     33
    .sgpr_spill_count: 0
    .symbol:         fft_rtc_fwd_len1872_factors_13_3_4_6_2_wgs_156_tpt_156_halfLds_sp_op_CI_CI_sbrr_dirReg.kd
    .uniform_work_group_size: 1
    .uses_dynamic_stack: false
    .vgpr_count:     63
    .vgpr_spill_count: 0
    .wavefront_size: 32
    .workgroup_processor_mode: 1
amdhsa.target:   amdgcn-amd-amdhsa--gfx1030
amdhsa.version:
  - 1
  - 2
...

	.end_amdgpu_metadata
